;; amdgpu-corpus repo=llvm/llvm-project kind=harvested arch=n/a opt=n/a
// NOTE: Assertions have been autogenerated by utils/update_mc_test_checks.py UTC_ARGS: --unique --sort --version 6
// RUN: not llvm-mc -triple=amdgcn -mcpu=gfx900 %s -filetype=null 2>&1 | FileCheck -check-prefix=GFX9-ERR --implicit-check-not=error: %s

v_addc_co_u32_e32 v3, vcc, 12345, v3, vcc
// GFX9-ERR: :[[@LINE-1]]:28: error: invalid operand (violates constant bus restrictions)

v_cndmask_b32 v0, 12345, v1, vcc
// GFX9-ERR: :[[@LINE-1]]:19: error: invalid operand (violates constant bus restrictions)
